;; amdgpu-corpus repo=ROCm/rocFFT kind=compiled arch=gfx906 opt=O3
	.text
	.amdgcn_target "amdgcn-amd-amdhsa--gfx906"
	.amdhsa_code_object_version 6
	.protected	fft_rtc_back_len26_factors_13_2_wgs_64_tpt_2_halfLds_dp_op_CI_CI_unitstride_sbrr_R2C_dirReg ; -- Begin function fft_rtc_back_len26_factors_13_2_wgs_64_tpt_2_halfLds_dp_op_CI_CI_unitstride_sbrr_R2C_dirReg
	.globl	fft_rtc_back_len26_factors_13_2_wgs_64_tpt_2_halfLds_dp_op_CI_CI_unitstride_sbrr_R2C_dirReg
	.p2align	8
	.type	fft_rtc_back_len26_factors_13_2_wgs_64_tpt_2_halfLds_dp_op_CI_CI_unitstride_sbrr_R2C_dirReg,@function
fft_rtc_back_len26_factors_13_2_wgs_64_tpt_2_halfLds_dp_op_CI_CI_unitstride_sbrr_R2C_dirReg: ; @fft_rtc_back_len26_factors_13_2_wgs_64_tpt_2_halfLds_dp_op_CI_CI_unitstride_sbrr_R2C_dirReg
; %bb.0:
	s_load_dwordx4 s[8:11], s[4:5], 0x58
	s_load_dwordx4 s[12:15], s[4:5], 0x0
	;; [unrolled: 1-line block ×3, first 2 shown]
	v_lshrrev_b32_e32 v7, 1, v0
	v_mov_b32_e32 v3, 0
	v_mov_b32_e32 v1, 0
	s_waitcnt lgkmcnt(0)
	v_cmp_lt_u64_e64 s[0:1], s[14:15], 2
	v_lshl_or_b32 v5, s6, 5, v7
	v_mov_b32_e32 v6, v3
	s_and_b64 vcc, exec, s[0:1]
	v_mov_b32_e32 v2, 0
	s_cbranch_vccnz .LBB0_8
; %bb.1:
	s_load_dwordx2 s[0:1], s[4:5], 0x10
	s_add_u32 s2, s18, 8
	s_addc_u32 s3, s19, 0
	s_add_u32 s6, s16, 8
	v_mov_b32_e32 v1, 0
	s_addc_u32 s7, s17, 0
	v_mov_b32_e32 v2, 0
	s_waitcnt lgkmcnt(0)
	s_add_u32 s20, s0, 8
	v_mov_b32_e32 v57, v2
	s_addc_u32 s21, s1, 0
	s_mov_b64 s[22:23], 1
	v_mov_b32_e32 v56, v1
.LBB0_2:                                ; =>This Inner Loop Header: Depth=1
	s_load_dwordx2 s[24:25], s[20:21], 0x0
                                        ; implicit-def: $vgpr60_vgpr61
	s_waitcnt lgkmcnt(0)
	v_or_b32_e32 v4, s25, v6
	v_cmp_ne_u64_e32 vcc, 0, v[3:4]
	s_and_saveexec_b64 s[0:1], vcc
	s_xor_b64 s[26:27], exec, s[0:1]
	s_cbranch_execz .LBB0_4
; %bb.3:                                ;   in Loop: Header=BB0_2 Depth=1
	v_cvt_f32_u32_e32 v4, s24
	v_cvt_f32_u32_e32 v8, s25
	s_sub_u32 s0, 0, s24
	s_subb_u32 s1, 0, s25
	v_mac_f32_e32 v4, 0x4f800000, v8
	v_rcp_f32_e32 v4, v4
	v_mul_f32_e32 v4, 0x5f7ffffc, v4
	v_mul_f32_e32 v8, 0x2f800000, v4
	v_trunc_f32_e32 v8, v8
	v_mac_f32_e32 v4, 0xcf800000, v8
	v_cvt_u32_f32_e32 v8, v8
	v_cvt_u32_f32_e32 v4, v4
	v_mul_lo_u32 v9, s0, v8
	v_mul_hi_u32 v10, s0, v4
	v_mul_lo_u32 v12, s1, v4
	v_mul_lo_u32 v11, s0, v4
	v_add_u32_e32 v9, v10, v9
	v_add_u32_e32 v9, v9, v12
	v_mul_hi_u32 v10, v4, v11
	v_mul_lo_u32 v12, v4, v9
	v_mul_hi_u32 v14, v4, v9
	v_mul_hi_u32 v13, v8, v11
	v_mul_lo_u32 v11, v8, v11
	v_mul_hi_u32 v15, v8, v9
	v_add_co_u32_e32 v10, vcc, v10, v12
	v_addc_co_u32_e32 v12, vcc, 0, v14, vcc
	v_mul_lo_u32 v9, v8, v9
	v_add_co_u32_e32 v10, vcc, v10, v11
	v_addc_co_u32_e32 v10, vcc, v12, v13, vcc
	v_addc_co_u32_e32 v11, vcc, 0, v15, vcc
	v_add_co_u32_e32 v9, vcc, v10, v9
	v_addc_co_u32_e32 v10, vcc, 0, v11, vcc
	v_add_co_u32_e32 v4, vcc, v4, v9
	v_addc_co_u32_e32 v8, vcc, v8, v10, vcc
	v_mul_lo_u32 v9, s0, v8
	v_mul_hi_u32 v10, s0, v4
	v_mul_lo_u32 v11, s1, v4
	v_mul_lo_u32 v12, s0, v4
	v_add_u32_e32 v9, v10, v9
	v_add_u32_e32 v9, v9, v11
	v_mul_lo_u32 v13, v4, v9
	v_mul_hi_u32 v14, v4, v12
	v_mul_hi_u32 v15, v4, v9
	v_mul_hi_u32 v11, v8, v12
	v_mul_lo_u32 v12, v8, v12
	v_mul_hi_u32 v10, v8, v9
	v_add_co_u32_e32 v13, vcc, v14, v13
	v_addc_co_u32_e32 v14, vcc, 0, v15, vcc
	v_mul_lo_u32 v9, v8, v9
	v_add_co_u32_e32 v12, vcc, v13, v12
	v_addc_co_u32_e32 v11, vcc, v14, v11, vcc
	v_addc_co_u32_e32 v10, vcc, 0, v10, vcc
	v_add_co_u32_e32 v9, vcc, v11, v9
	v_addc_co_u32_e32 v10, vcc, 0, v10, vcc
	v_add_co_u32_e32 v4, vcc, v4, v9
	v_addc_co_u32_e32 v10, vcc, v8, v10, vcc
	v_mad_u64_u32 v[8:9], s[0:1], v5, v10, 0
	v_mul_hi_u32 v11, v5, v4
	v_add_co_u32_e32 v12, vcc, v11, v8
	v_addc_co_u32_e32 v13, vcc, 0, v9, vcc
	v_mad_u64_u32 v[8:9], s[0:1], v6, v4, 0
	v_mad_u64_u32 v[10:11], s[0:1], v6, v10, 0
	v_add_co_u32_e32 v4, vcc, v12, v8
	v_addc_co_u32_e32 v4, vcc, v13, v9, vcc
	v_addc_co_u32_e32 v8, vcc, 0, v11, vcc
	v_add_co_u32_e32 v4, vcc, v4, v10
	v_addc_co_u32_e32 v10, vcc, 0, v8, vcc
	v_mul_lo_u32 v11, s25, v4
	v_mul_lo_u32 v12, s24, v10
	v_mad_u64_u32 v[8:9], s[0:1], s24, v4, 0
	v_add3_u32 v9, v9, v12, v11
	v_sub_u32_e32 v11, v6, v9
	v_mov_b32_e32 v12, s25
	v_sub_co_u32_e32 v8, vcc, v5, v8
	v_subb_co_u32_e64 v11, s[0:1], v11, v12, vcc
	v_subrev_co_u32_e64 v12, s[0:1], s24, v8
	v_subbrev_co_u32_e64 v11, s[0:1], 0, v11, s[0:1]
	v_cmp_le_u32_e64 s[0:1], s25, v11
	v_cndmask_b32_e64 v13, 0, -1, s[0:1]
	v_cmp_le_u32_e64 s[0:1], s24, v12
	v_cndmask_b32_e64 v12, 0, -1, s[0:1]
	v_cmp_eq_u32_e64 s[0:1], s25, v11
	v_cndmask_b32_e64 v11, v13, v12, s[0:1]
	v_add_co_u32_e64 v12, s[0:1], 2, v4
	v_addc_co_u32_e64 v13, s[0:1], 0, v10, s[0:1]
	v_add_co_u32_e64 v14, s[0:1], 1, v4
	v_addc_co_u32_e64 v15, s[0:1], 0, v10, s[0:1]
	v_subb_co_u32_e32 v9, vcc, v6, v9, vcc
	v_cmp_ne_u32_e64 s[0:1], 0, v11
	v_cmp_le_u32_e32 vcc, s25, v9
	v_cndmask_b32_e64 v11, v15, v13, s[0:1]
	v_cndmask_b32_e64 v13, 0, -1, vcc
	v_cmp_le_u32_e32 vcc, s24, v8
	v_cndmask_b32_e64 v8, 0, -1, vcc
	v_cmp_eq_u32_e32 vcc, s25, v9
	v_cndmask_b32_e32 v8, v13, v8, vcc
	v_cmp_ne_u32_e32 vcc, 0, v8
	v_cndmask_b32_e64 v8, v14, v12, s[0:1]
	v_cndmask_b32_e32 v61, v10, v11, vcc
	v_cndmask_b32_e32 v60, v4, v8, vcc
.LBB0_4:                                ;   in Loop: Header=BB0_2 Depth=1
	s_andn2_saveexec_b64 s[0:1], s[26:27]
	s_cbranch_execz .LBB0_6
; %bb.5:                                ;   in Loop: Header=BB0_2 Depth=1
	v_cvt_f32_u32_e32 v4, s24
	s_sub_i32 s26, 0, s24
	v_mov_b32_e32 v61, v3
	v_rcp_iflag_f32_e32 v4, v4
	v_mul_f32_e32 v4, 0x4f7ffffe, v4
	v_cvt_u32_f32_e32 v4, v4
	v_mul_lo_u32 v8, s26, v4
	v_mul_hi_u32 v8, v4, v8
	v_add_u32_e32 v4, v4, v8
	v_mul_hi_u32 v4, v5, v4
	v_mul_lo_u32 v8, v4, s24
	v_add_u32_e32 v9, 1, v4
	v_sub_u32_e32 v8, v5, v8
	v_subrev_u32_e32 v10, s24, v8
	v_cmp_le_u32_e32 vcc, s24, v8
	v_cndmask_b32_e32 v8, v8, v10, vcc
	v_cndmask_b32_e32 v4, v4, v9, vcc
	v_add_u32_e32 v9, 1, v4
	v_cmp_le_u32_e32 vcc, s24, v8
	v_cndmask_b32_e32 v60, v4, v9, vcc
.LBB0_6:                                ;   in Loop: Header=BB0_2 Depth=1
	s_or_b64 exec, exec, s[0:1]
	v_mul_lo_u32 v4, v61, s24
	v_mul_lo_u32 v10, v60, s25
	v_mad_u64_u32 v[8:9], s[0:1], v60, s24, 0
	s_load_dwordx2 s[0:1], s[6:7], 0x0
	s_load_dwordx2 s[24:25], s[2:3], 0x0
	v_add3_u32 v4, v9, v10, v4
	v_sub_co_u32_e32 v5, vcc, v5, v8
	v_subb_co_u32_e32 v4, vcc, v6, v4, vcc
	s_waitcnt lgkmcnt(0)
	v_mul_lo_u32 v6, s0, v4
	v_mul_lo_u32 v8, s1, v5
	v_mad_u64_u32 v[1:2], s[0:1], s0, v5, v[1:2]
	v_mul_lo_u32 v4, s24, v4
	v_mul_lo_u32 v9, s25, v5
	v_mad_u64_u32 v[56:57], s[0:1], s24, v5, v[56:57]
	s_add_u32 s22, s22, 1
	s_addc_u32 s23, s23, 0
	s_add_u32 s2, s2, 8
	v_add3_u32 v57, v9, v57, v4
	s_addc_u32 s3, s3, 0
	v_mov_b32_e32 v4, s14
	s_add_u32 s6, s6, 8
	v_mov_b32_e32 v5, s15
	s_addc_u32 s7, s7, 0
	v_cmp_ge_u64_e32 vcc, s[22:23], v[4:5]
	s_add_u32 s20, s20, 8
	v_add3_u32 v2, v8, v2, v6
	s_addc_u32 s21, s21, 0
	s_cbranch_vccnz .LBB0_9
; %bb.7:                                ;   in Loop: Header=BB0_2 Depth=1
	v_mov_b32_e32 v5, v60
	v_mov_b32_e32 v6, v61
	s_branch .LBB0_2
.LBB0_8:
	v_mov_b32_e32 v57, v2
	v_mov_b32_e32 v61, v6
	;; [unrolled: 1-line block ×4, first 2 shown]
.LBB0_9:
	s_load_dwordx2 s[0:1], s[4:5], 0x28
	s_lshl_b64 s[6:7], s[14:15], 3
	s_add_u32 s2, s18, s6
	s_addc_u32 s3, s19, s7
	v_and_b32_e32 v58, 1, v0
	s_waitcnt lgkmcnt(0)
	v_cmp_gt_u64_e32 vcc, s[0:1], v[60:61]
	v_cmp_le_u64_e64 s[0:1], s[0:1], v[60:61]
                                        ; implicit-def: $vgpr66
                                        ; implicit-def: $vgpr65
                                        ; implicit-def: $vgpr64
                                        ; implicit-def: $vgpr63
                                        ; implicit-def: $vgpr62
	s_and_saveexec_b64 s[4:5], s[0:1]
	s_xor_b64 s[0:1], exec, s[4:5]
; %bb.10:
	v_and_b32_e32 v58, 1, v0
	v_or_b32_e32 v66, 2, v58
	v_or_b32_e32 v65, 4, v58
	;; [unrolled: 1-line block ×5, first 2 shown]
                                        ; implicit-def: $vgpr1_vgpr2
; %bb.11:
	s_or_saveexec_b64 s[4:5], s[0:1]
	v_mul_u32_u24_e32 v0, 27, v7
	v_lshlrev_b32_e32 v0, 4, v0
	s_xor_b64 exec, exec, s[4:5]
	s_cbranch_execz .LBB0_13
; %bb.12:
	s_add_u32 s0, s16, s6
	s_addc_u32 s1, s17, s7
	s_load_dwordx2 s[0:1], s[0:1], 0x0
	v_mov_b32_e32 v7, s9
	v_lshlrev_b64 v[1:2], 4, v[1:2]
	v_lshlrev_b32_e32 v55, 4, v58
	v_or_b32_e32 v66, 2, v58
	s_waitcnt lgkmcnt(0)
	v_mul_lo_u32 v5, s1, v60
	v_mul_lo_u32 v6, s0, v61
	v_mad_u64_u32 v[3:4], s[0:1], s0, v60, 0
	v_or_b32_e32 v65, 4, v58
	v_or_b32_e32 v64, 6, v58
	v_add3_u32 v4, v4, v6, v5
	v_lshlrev_b64 v[3:4], 4, v[3:4]
	v_or_b32_e32 v63, 8, v58
	v_add_co_u32_e64 v3, s[0:1], s8, v3
	v_addc_co_u32_e64 v4, s[0:1], v7, v4, s[0:1]
	v_add_co_u32_e64 v1, s[0:1], v3, v1
	v_addc_co_u32_e64 v2, s[0:1], v4, v2, s[0:1]
	v_add_co_u32_e64 v53, s[0:1], v1, v55
	v_addc_co_u32_e64 v54, s[0:1], 0, v2, s[0:1]
	global_load_dwordx4 v[1:4], v[53:54], off
	global_load_dwordx4 v[5:8], v[53:54], off offset:32
	global_load_dwordx4 v[9:12], v[53:54], off offset:64
	;; [unrolled: 1-line block ×12, first 2 shown]
	v_or_b32_e32 v62, 10, v58
	v_add3_u32 v53, 0, v0, v55
	s_waitcnt vmcnt(12)
	ds_write_b128 v53, v[1:4]
	s_waitcnt vmcnt(11)
	ds_write_b128 v53, v[5:8] offset:32
	s_waitcnt vmcnt(10)
	ds_write_b128 v53, v[9:12] offset:64
	;; [unrolled: 2-line block ×12, first 2 shown]
.LBB0_13:
	s_or_b64 exec, exec, s[4:5]
	v_add_u32_e32 v87, 0, v0
	v_lshlrev_b32_e32 v89, 4, v58
	v_add_u32_e32 v88, v87, v89
	s_load_dwordx2 s[6:7], s[2:3], 0x0
	s_waitcnt lgkmcnt(0)
	; wave barrier
	s_waitcnt lgkmcnt(0)
	v_add3_u32 v90, 0, v89, v0
	ds_read_b128 v[24:27], v88
	ds_read_b128 v[0:3], v90 offset:32
	ds_read_b128 v[28:31], v90 offset:64
	;; [unrolled: 1-line block ×5, first 2 shown]
	s_mov_b32 s34, 0x4267c47c
	s_waitcnt lgkmcnt(4)
	v_add_f64 v[4:5], v[24:25], v[0:1]
	v_add_f64 v[6:7], v[26:27], v[2:3]
	s_mov_b32 s35, 0xbfddbe06
	s_mov_b32 s24, 0xe00740e9
	s_mov_b32 s22, 0x42a4c3d2
	s_mov_b32 s20, 0x1ea71119
	s_mov_b32 s4, 0x66966769
	s_mov_b32 s2, 0xebaa3ed8
	s_waitcnt lgkmcnt(3)
	v_add_f64 v[4:5], v[4:5], v[28:29]
	v_add_f64 v[6:7], v[6:7], v[30:31]
	s_mov_b32 s25, 0x3fec55a7
	s_mov_b32 s23, 0xbfea55e2
	s_mov_b32 s21, 0x3fe22d96
	s_mov_b32 s5, 0xbfefc445
	s_mov_b32 s3, 0x3fbedb7d
	;; [unrolled: 9-line block ×4, first 2 shown]
	s_mov_b32 s26, s34
	s_waitcnt lgkmcnt(0)
	v_add_f64 v[16:17], v[4:5], v[12:13]
	v_add_f64 v[18:19], v[6:7], v[14:15]
	ds_read_b128 v[4:7], v90 offset:192
	ds_read_b128 v[8:11], v90 offset:224
	;; [unrolled: 1-line block ×3, first 2 shown]
	s_mov_b32 s15, 0xbfd6b1d8
	s_mov_b32 s29, 0xbfe5384d
	;; [unrolled: 1-line block ×4, first 2 shown]
	s_waitcnt lgkmcnt(2)
	v_add_f64 v[52:53], v[16:17], v[4:5]
	v_add_f64 v[54:55], v[18:19], v[6:7]
	s_waitcnt lgkmcnt(0)
	v_add_f64 v[67:68], v[2:3], -v[38:39]
	v_add_f64 v[69:70], v[2:3], v[38:39]
	ds_read_b128 v[16:19], v90 offset:256
	ds_read_b128 v[40:43], v90 offset:288
	v_add_f64 v[71:72], v[0:1], -v[36:37]
	ds_read_b128 v[44:47], v90 offset:320
	ds_read_b128 v[48:51], v90 offset:352
	s_mov_b32 s41, 0xbfef11f4
	v_add_f64 v[2:3], v[52:53], v[8:9]
	v_add_f64 v[52:53], v[54:55], v[10:11]
	;; [unrolled: 1-line block ×3, first 2 shown]
	v_mul_f64 v[0:1], v[67:68], s[34:35]
	v_mul_f64 v[75:76], v[67:68], s[22:23]
	;; [unrolled: 1-line block ×5, first 2 shown]
	s_waitcnt lgkmcnt(3)
	v_add_f64 v[2:3], v[2:3], v[16:17]
	v_add_f64 v[52:53], v[52:53], v[18:19]
	v_mul_f64 v[73:74], v[69:70], s[24:25]
	v_fma_f64 v[85:86], v[54:55], s[24:25], v[0:1]
	v_fma_f64 v[0:1], v[54:55], s[24:25], -v[0:1]
	v_fma_f64 v[93:94], v[54:55], s[20:21], v[75:76]
	v_fma_f64 v[95:96], v[71:72], s[18:19], v[77:78]
	;; [unrolled: 1-line block ×3, first 2 shown]
	s_waitcnt lgkmcnt(2)
	v_add_f64 v[2:3], v[2:3], v[40:41]
	v_add_f64 v[52:53], v[52:53], v[42:43]
	v_fma_f64 v[99:100], v[71:72], s[0:1], v[81:82]
	s_waitcnt lgkmcnt(0)
	v_add_f64 v[111:112], v[30:31], v[50:51]
	v_add_f64 v[101:102], v[24:25], v[0:1]
	v_add_f64 v[30:31], v[30:31], -v[50:51]
	v_mul_f64 v[83:84], v[67:68], s[8:9]
	v_fma_f64 v[91:92], v[71:72], s[26:27], v[73:74]
	v_add_f64 v[2:3], v[2:3], v[44:45]
	v_add_f64 v[52:53], v[52:53], v[46:47]
	v_mul_f64 v[103:104], v[69:70], s[30:31]
	v_add_f64 v[113:114], v[28:29], v[48:49]
	v_add_f64 v[28:29], v[28:29], -v[48:49]
	v_mul_f64 v[115:116], v[111:112], s[20:21]
	s_mov_b32 s17, 0x3fedeba7
	s_mov_b32 s16, s8
	v_add_f64 v[0:1], v[2:3], v[48:49]
	v_add_f64 v[2:3], v[52:53], v[50:51]
	;; [unrolled: 1-line block ×6, first 2 shown]
	v_mul_f64 v[99:100], v[67:68], s[28:29]
	v_mul_f64 v[67:68], v[67:68], s[38:39]
	v_add_f64 v[0:1], v[0:1], v[36:37]
	v_fma_f64 v[36:37], v[71:72], s[4:5], v[81:82]
	v_mul_f64 v[81:82], v[69:70], s[14:15]
	v_mul_f64 v[50:51], v[69:70], s[40:41]
	;; [unrolled: 1-line block ×3, first 2 shown]
	s_mov_b32 s37, 0x3fe5384d
	s_mov_b32 s36, s28
	;; [unrolled: 1-line block ×4, first 2 shown]
	v_fma_f64 v[73:74], v[71:72], s[34:35], v[73:74]
	v_fma_f64 v[75:76], v[54:55], s[20:21], -v[75:76]
	v_fma_f64 v[77:78], v[71:72], s[22:23], v[77:78]
	v_fma_f64 v[79:80], v[54:55], s[2:3], -v[79:80]
	v_add_f64 v[85:86], v[24:25], v[85:86]
	v_add_f64 v[91:92], v[26:27], v[91:92]
	;; [unrolled: 1-line block ×3, first 2 shown]
	v_fma_f64 v[38:39], v[54:55], s[14:15], v[83:84]
	v_fma_f64 v[105:106], v[71:72], s[16:17], v[81:82]
	v_fma_f64 v[83:84], v[54:55], s[14:15], -v[83:84]
	v_fma_f64 v[81:82], v[71:72], s[8:9], v[81:82]
	v_fma_f64 v[107:108], v[54:55], s[30:31], v[99:100]
	v_fma_f64 v[109:110], v[71:72], s[36:37], v[103:104]
	v_fma_f64 v[99:100], v[54:55], s[30:31], -v[99:100]
	v_fma_f64 v[103:104], v[71:72], s[28:29], v[103:104]
	;; [unrolled: 4-line block ×3, first 2 shown]
	v_fma_f64 v[67:68], v[113:114], s[20:21], v[48:49]
	v_fma_f64 v[71:72], v[28:29], s[18:19], v[115:116]
	v_mul_f64 v[119:120], v[30:31], s[8:9]
	v_mul_f64 v[121:122], v[111:112], s[14:15]
	v_add_f64 v[73:74], v[26:27], v[73:74]
	v_add_f64 v[75:76], v[24:25], v[75:76]
	;; [unrolled: 1-line block ×19, first 2 shown]
	v_fma_f64 v[48:49], v[113:114], s[20:21], -v[48:49]
	v_fma_f64 v[67:68], v[28:29], s[22:23], v[115:116]
	v_fma_f64 v[71:72], v[113:114], s[14:15], v[119:120]
	;; [unrolled: 1-line block ×3, first 2 shown]
	v_mul_f64 v[91:92], v[30:31], s[38:39]
	v_mul_f64 v[115:116], v[111:112], s[40:41]
	v_fma_f64 v[119:120], v[113:114], s[14:15], -v[119:120]
	v_fma_f64 v[121:122], v[28:29], s[8:9], v[121:122]
	v_add_f64 v[48:49], v[48:49], v[101:102]
	v_add_f64 v[67:68], v[67:68], v[73:74]
	;; [unrolled: 1-line block ×4, first 2 shown]
	v_fma_f64 v[73:74], v[113:114], s[40:41], v[91:92]
	v_fma_f64 v[85:86], v[28:29], s[42:43], v[115:116]
	v_fma_f64 v[91:92], v[113:114], s[40:41], -v[91:92]
	v_fma_f64 v[93:94], v[28:29], s[38:39], v[115:116]
	v_mul_f64 v[101:102], v[30:31], s[36:37]
	v_mul_f64 v[115:116], v[111:112], s[30:31]
	v_add_f64 v[75:76], v[119:120], v[75:76]
	v_add_f64 v[77:78], v[121:122], v[77:78]
	;; [unrolled: 1-line block ×4, first 2 shown]
	v_mul_f64 v[95:96], v[30:31], s[0:1]
	v_mul_f64 v[97:98], v[111:112], s[2:3]
	v_add_f64 v[79:80], v[91:92], v[79:80]
	v_add_f64 v[36:37], v[93:94], v[36:37]
	v_fma_f64 v[91:92], v[113:114], s[30:31], v[101:102]
	v_fma_f64 v[93:94], v[28:29], s[28:29], v[115:116]
	v_fma_f64 v[101:102], v[113:114], s[30:31], -v[101:102]
	v_fma_f64 v[115:116], v[28:29], s[36:37], v[115:116]
	v_fma_f64 v[119:120], v[113:114], s[2:3], v[95:96]
	;; [unrolled: 1-line block ×3, first 2 shown]
	v_mul_f64 v[30:31], v[30:31], s[26:27]
	v_fma_f64 v[95:96], v[113:114], s[2:3], -v[95:96]
	v_add_f64 v[38:39], v[91:92], v[38:39]
	v_add_f64 v[91:92], v[93:94], v[105:106]
	v_add_f64 v[105:106], v[34:35], -v[46:47]
	v_add_f64 v[34:35], v[34:35], v[46:47]
	v_add_f64 v[83:84], v[101:102], v[83:84]
	;; [unrolled: 1-line block ×4, first 2 shown]
	v_mul_f64 v[46:47], v[111:112], s[24:25]
	v_fma_f64 v[97:98], v[28:29], s[0:1], v[97:98]
	v_add_f64 v[107:108], v[32:33], v[44:45]
	v_add_f64 v[32:33], v[32:33], -v[44:45]
	v_mul_f64 v[44:45], v[105:106], s[4:5]
	v_mul_f64 v[109:110], v[34:35], s[2:3]
	v_add_f64 v[81:82], v[115:116], v[81:82]
	v_fma_f64 v[111:112], v[113:114], s[24:25], v[30:31]
	v_fma_f64 v[115:116], v[28:29], s[34:35], v[46:47]
	v_fma_f64 v[30:31], v[113:114], s[24:25], -v[30:31]
	v_fma_f64 v[28:29], v[28:29], s[26:27], v[46:47]
	v_add_f64 v[46:47], v[95:96], v[99:100]
	v_add_f64 v[95:96], v[97:98], v[103:104]
	v_fma_f64 v[97:98], v[107:108], s[2:3], v[44:45]
	v_fma_f64 v[99:100], v[32:33], s[0:1], v[109:110]
	v_fma_f64 v[44:45], v[107:108], s[2:3], -v[44:45]
	v_add_f64 v[69:70], v[111:112], v[69:70]
	v_add_f64 v[24:25], v[30:31], v[24:25]
	v_mul_f64 v[30:31], v[34:35], s[40:41]
	v_add_f64 v[26:27], v[28:29], v[26:27]
	v_mul_f64 v[28:29], v[105:106], s[38:39]
	v_add_f64 v[50:51], v[97:98], v[50:51]
	v_add_f64 v[54:55], v[99:100], v[54:55]
	v_fma_f64 v[97:98], v[32:33], s[4:5], v[109:110]
	v_mul_f64 v[99:100], v[105:106], s[16:17]
	v_mul_f64 v[109:110], v[34:35], s[14:15]
	v_fma_f64 v[113:114], v[32:33], s[42:43], v[30:31]
	v_fma_f64 v[30:31], v[32:33], s[38:39], v[30:31]
	v_add_f64 v[44:45], v[44:45], v[48:49]
	v_fma_f64 v[111:112], v[107:108], s[40:41], v[28:29]
	v_fma_f64 v[28:29], v[107:108], s[40:41], -v[28:29]
	v_add_f64 v[48:49], v[97:98], v[67:68]
	v_fma_f64 v[67:68], v[107:108], s[14:15], v[99:100]
	v_fma_f64 v[97:98], v[32:33], s[8:9], v[109:110]
	v_add_f64 v[103:104], v[115:116], v[117:118]
	v_add_f64 v[30:31], v[30:31], v[77:78]
	v_mul_f64 v[77:78], v[34:35], s[24:25]
	v_add_f64 v[71:72], v[113:114], v[71:72]
	v_add_f64 v[28:29], v[28:29], v[75:76]
	v_mul_f64 v[75:76], v[105:106], s[26:27]
	;; [unrolled: 3-line block ×3, first 2 shown]
	v_mul_f64 v[97:98], v[34:35], s[20:21]
	v_fma_f64 v[113:114], v[32:33], s[34:35], v[77:78]
	v_fma_f64 v[77:78], v[32:33], s[26:27], v[77:78]
	v_add_f64 v[52:53], v[111:112], v[52:53]
	v_fma_f64 v[99:100], v[107:108], s[14:15], -v[99:100]
	v_fma_f64 v[111:112], v[107:108], s[24:25], v[75:76]
	v_fma_f64 v[75:76], v[107:108], s[24:25], -v[75:76]
	v_fma_f64 v[115:116], v[107:108], s[20:21], v[85:86]
	v_fma_f64 v[117:118], v[32:33], s[18:19], v[97:98]
	;; [unrolled: 1-line block ×3, first 2 shown]
	v_add_f64 v[77:78], v[77:78], v[81:82]
	v_mul_f64 v[34:35], v[34:35], s[30:31]
	v_add_f64 v[79:80], v[99:100], v[79:80]
	v_fma_f64 v[85:86], v[107:108], s[20:21], -v[85:86]
	v_add_f64 v[75:76], v[75:76], v[83:84]
	v_add_f64 v[81:82], v[115:116], v[93:94]
	v_add_f64 v[93:94], v[22:23], -v[42:43]
	v_add_f64 v[22:23], v[22:23], v[42:43]
	v_add_f64 v[83:84], v[117:118], v[101:102]
	v_fma_f64 v[97:98], v[32:33], s[22:23], v[97:98]
	v_add_f64 v[99:100], v[20:21], v[40:41]
	v_add_f64 v[20:21], v[20:21], -v[40:41]
	v_add_f64 v[36:37], v[109:110], v[36:37]
	v_mul_f64 v[42:43], v[105:106], s[28:29]
	v_mul_f64 v[40:41], v[93:94], s[8:9]
	;; [unrolled: 1-line block ×3, first 2 shown]
	v_fma_f64 v[109:110], v[32:33], s[36:37], v[34:35]
	v_fma_f64 v[32:33], v[32:33], s[28:29], v[34:35]
	v_add_f64 v[34:35], v[85:86], v[46:47]
	v_add_f64 v[46:47], v[97:98], v[95:96]
	;; [unrolled: 1-line block ×3, first 2 shown]
	v_fma_f64 v[105:106], v[107:108], s[30:31], v[42:43]
	v_fma_f64 v[85:86], v[99:100], s[14:15], v[40:41]
	;; [unrolled: 1-line block ×3, first 2 shown]
	v_fma_f64 v[42:43], v[107:108], s[30:31], -v[42:43]
	v_add_f64 v[26:27], v[32:33], v[26:27]
	v_mul_f64 v[32:33], v[93:94], s[36:37]
	v_fma_f64 v[40:41], v[99:100], s[14:15], -v[40:41]
	v_add_f64 v[97:98], v[109:110], v[103:104]
	v_add_f64 v[69:70], v[105:106], v[69:70]
	;; [unrolled: 1-line block ×4, first 2 shown]
	v_mul_f64 v[95:96], v[93:94], s[26:27]
	v_add_f64 v[24:25], v[42:43], v[24:25]
	v_mul_f64 v[42:43], v[22:23], s[30:31]
	v_fma_f64 v[54:55], v[20:21], s[8:9], v[101:102]
	v_fma_f64 v[103:104], v[99:100], s[30:31], v[32:33]
	v_fma_f64 v[32:33], v[99:100], s[30:31], -v[32:33]
	v_add_f64 v[40:41], v[40:41], v[44:45]
	v_mul_f64 v[101:102], v[22:23], s[24:25]
	v_fma_f64 v[44:45], v[99:100], s[24:25], v[95:96]
	v_add_f64 v[91:92], v[113:114], v[91:92]
	v_fma_f64 v[105:106], v[20:21], s[28:29], v[42:43]
	v_fma_f64 v[42:43], v[20:21], s[36:37], v[42:43]
	v_add_f64 v[107:108], v[54:55], v[48:49]
	v_add_f64 v[28:29], v[32:33], v[28:29]
	v_mul_f64 v[32:33], v[93:94], s[4:5]
	v_mul_f64 v[54:55], v[22:23], s[40:41]
	v_add_f64 v[67:68], v[44:45], v[67:68]
	v_fma_f64 v[44:45], v[99:100], s[24:25], -v[95:96]
	v_fma_f64 v[48:49], v[20:21], s[34:35], v[101:102]
	v_add_f64 v[105:106], v[105:106], v[71:72]
	v_add_f64 v[30:31], v[42:43], v[30:31]
	v_mul_f64 v[42:43], v[22:23], s[2:3]
	v_fma_f64 v[71:72], v[99:100], s[2:3], v[32:33]
	v_fma_f64 v[32:33], v[99:100], s[2:3], -v[32:33]
	v_add_f64 v[103:104], v[103:104], v[52:53]
	v_add_f64 v[79:80], v[44:45], v[79:80]
	v_fma_f64 v[44:45], v[20:21], s[38:39], v[54:55]
	v_add_f64 v[109:110], v[48:49], v[73:74]
	v_fma_f64 v[48:49], v[20:21], s[26:27], v[101:102]
	v_mul_f64 v[52:53], v[93:94], s[42:43]
	v_fma_f64 v[73:74], v[20:21], s[0:1], v[42:43]
	v_add_f64 v[111:112], v[32:33], v[75:76]
	v_mul_f64 v[32:33], v[93:94], s[18:19]
	v_fma_f64 v[42:43], v[20:21], s[4:5], v[42:43]
	v_add_f64 v[93:94], v[44:45], v[83:84]
	v_add_f64 v[83:84], v[14:15], -v[18:19]
	v_add_f64 v[95:96], v[48:49], v[36:37]
	v_fma_f64 v[36:37], v[99:100], s[40:41], v[52:53]
	v_add_f64 v[101:102], v[71:72], v[38:39]
	v_add_f64 v[91:92], v[73:74], v[91:92]
	v_mul_f64 v[22:23], v[22:23], s[20:21]
	v_add_f64 v[14:15], v[14:15], v[18:19]
	v_fma_f64 v[18:19], v[99:100], s[40:41], -v[52:53]
	v_add_f64 v[71:72], v[12:13], v[16:17]
	v_add_f64 v[73:74], v[12:13], -v[16:17]
	v_mul_f64 v[12:13], v[83:84], s[28:29]
	v_fma_f64 v[38:39], v[99:100], s[20:21], v[32:33]
	v_fma_f64 v[32:33], v[99:100], s[20:21], -v[32:33]
	v_add_f64 v[113:114], v[42:43], v[77:78]
	v_add_f64 v[81:82], v[36:37], v[81:82]
	v_fma_f64 v[36:37], v[20:21], s[42:43], v[54:55]
	v_fma_f64 v[42:43], v[20:21], s[22:23], v[22:23]
	v_fma_f64 v[20:21], v[20:21], s[18:19], v[22:23]
	v_add_f64 v[52:53], v[18:19], v[34:35]
	v_fma_f64 v[18:19], v[71:72], s[30:31], v[12:13]
	v_mul_f64 v[16:17], v[14:15], s[30:31]
	v_add_f64 v[44:45], v[32:33], v[24:25]
	v_mul_f64 v[24:25], v[14:15], s[2:3]
	v_add_f64 v[54:55], v[36:37], v[46:47]
	v_fma_f64 v[12:13], v[71:72], s[30:31], -v[12:13]
	v_add_f64 v[46:47], v[20:21], v[26:27]
	v_mul_f64 v[20:21], v[83:84], s[0:1]
	v_add_f64 v[48:49], v[18:19], v[50:51]
	v_mul_f64 v[18:19], v[83:84], s[22:23]
	v_fma_f64 v[22:23], v[73:74], s[36:37], v[16:17]
	v_fma_f64 v[16:17], v[73:74], s[28:29], v[16:17]
	;; [unrolled: 1-line block ×3, first 2 shown]
	v_add_f64 v[36:37], v[12:13], v[40:41]
	v_add_f64 v[75:76], v[38:39], v[69:70]
	v_fma_f64 v[26:27], v[71:72], s[2:3], v[20:21]
	v_fma_f64 v[12:13], v[71:72], s[2:3], -v[20:21]
	v_fma_f64 v[20:21], v[71:72], s[20:21], v[18:19]
	v_add_f64 v[77:78], v[42:43], v[97:98]
	v_add_f64 v[50:51], v[22:23], v[85:86]
	v_mul_f64 v[22:23], v[14:15], s[20:21]
	v_add_f64 v[38:39], v[16:17], v[107:108]
	v_fma_f64 v[16:17], v[73:74], s[0:1], v[24:25]
	v_add_f64 v[42:43], v[32:33], v[105:106]
	v_mul_f64 v[32:33], v[83:84], s[42:43]
	v_mul_f64 v[69:70], v[14:15], s[40:41]
	v_add_f64 v[24:25], v[12:13], v[28:29]
	v_add_f64 v[28:29], v[20:21], v[67:68]
	v_fma_f64 v[12:13], v[71:72], s[20:21], -v[18:19]
	v_mul_f64 v[67:68], v[83:84], s[26:27]
	v_mul_f64 v[85:86], v[14:15], s[24:25]
	v_fma_f64 v[34:35], v[73:74], s[18:19], v[22:23]
	v_add_f64 v[40:41], v[26:27], v[103:104]
	v_add_f64 v[26:27], v[16:17], v[30:31]
	v_fma_f64 v[16:17], v[73:74], s[22:23], v[22:23]
	v_fma_f64 v[18:19], v[71:72], s[40:41], v[32:33]
	;; [unrolled: 1-line block ×4, first 2 shown]
	v_fma_f64 v[97:98], v[71:72], s[40:41], -v[32:33]
	v_add_f64 v[32:33], v[12:13], v[79:80]
	v_fma_f64 v[12:13], v[71:72], s[24:25], v[67:68]
	v_fma_f64 v[79:80], v[73:74], s[34:35], v[85:86]
	v_mul_f64 v[83:84], v[83:84], s[8:9]
	v_add_f64 v[20:21], v[18:19], v[101:102]
	v_fma_f64 v[67:68], v[71:72], s[24:25], -v[67:68]
	v_add_f64 v[18:19], v[69:70], v[113:114]
	v_fma_f64 v[69:70], v[73:74], s[26:27], v[85:86]
	v_mul_f64 v[85:86], v[14:15], s[14:15]
	v_add_f64 v[12:13], v[12:13], v[81:82]
	v_add_f64 v[14:15], v[79:80], v[93:94]
	v_add_f64 v[81:82], v[6:7], -v[10:11]
	v_add_f64 v[79:80], v[6:7], v[10:11]
	v_fma_f64 v[6:7], v[71:72], s[14:15], v[83:84]
	v_add_f64 v[52:53], v[67:68], v[52:53]
	v_add_f64 v[54:55], v[69:70], v[54:55]
	v_fma_f64 v[10:11], v[73:74], s[16:17], v[85:86]
	v_add_f64 v[69:70], v[4:5], v[8:9]
	v_add_f64 v[67:68], v[4:5], -v[8:9]
	v_mul_f64 v[4:5], v[81:82], s[38:39]
	v_mul_f64 v[8:9], v[79:80], s[40:41]
	v_fma_f64 v[83:84], v[71:72], s[14:15], -v[83:84]
	v_fma_f64 v[85:86], v[73:74], s[8:9], v[85:86]
	v_add_f64 v[71:72], v[6:7], v[75:76]
	v_add_f64 v[73:74], v[10:11], v[77:78]
	v_mul_f64 v[75:76], v[81:82], s[26:27]
	v_mul_f64 v[77:78], v[79:80], s[24:25]
	v_fma_f64 v[6:7], v[69:70], s[40:41], v[4:5]
	v_fma_f64 v[10:11], v[67:68], s[42:43], v[8:9]
	v_add_f64 v[22:23], v[22:23], v[91:92]
	v_add_f64 v[83:84], v[83:84], v[44:45]
	;; [unrolled: 1-line block ×3, first 2 shown]
	v_fma_f64 v[4:5], v[69:70], s[40:41], -v[4:5]
	v_fma_f64 v[44:45], v[67:68], s[38:39], v[8:9]
	v_fma_f64 v[46:47], v[69:70], s[24:25], v[75:76]
	;; [unrolled: 1-line block ×3, first 2 shown]
	v_add_f64 v[8:9], v[6:7], v[48:49]
	v_add_f64 v[10:11], v[10:11], v[50:51]
	v_mul_f64 v[48:49], v[81:82], s[28:29]
	v_mul_f64 v[50:51], v[79:80], s[30:31]
	v_add_f64 v[4:5], v[4:5], v[36:37]
	v_add_f64 v[6:7], v[44:45], v[38:39]
	;; [unrolled: 1-line block ×4, first 2 shown]
	v_fma_f64 v[40:41], v[69:70], s[24:25], -v[75:76]
	v_fma_f64 v[42:43], v[67:68], s[26:27], v[77:78]
	v_mul_f64 v[75:76], v[81:82], s[18:19]
	v_mul_f64 v[77:78], v[79:80], s[20:21]
	v_add_f64 v[30:31], v[34:35], v[109:110]
	v_add_f64 v[34:35], v[16:17], v[95:96]
	v_fma_f64 v[44:45], v[69:70], s[30:31], v[48:49]
	v_fma_f64 v[46:47], v[67:68], s[36:37], v[50:51]
	v_fma_f64 v[48:49], v[69:70], s[30:31], -v[48:49]
	v_fma_f64 v[50:51], v[67:68], s[28:29], v[50:51]
	v_add_f64 v[24:25], v[40:41], v[24:25]
	v_add_f64 v[26:27], v[42:43], v[26:27]
	v_fma_f64 v[40:41], v[69:70], s[20:21], v[75:76]
	v_fma_f64 v[42:43], v[67:68], s[22:23], v[77:78]
	v_add_f64 v[16:17], v[97:98], v[111:112]
	v_add_f64 v[28:29], v[44:45], v[28:29]
	;; [unrolled: 1-line block ×5, first 2 shown]
	v_fma_f64 v[44:45], v[69:70], s[20:21], -v[75:76]
	v_fma_f64 v[46:47], v[67:68], s[18:19], v[77:78]
	v_mul_f64 v[48:49], v[81:82], s[8:9]
	v_mul_f64 v[50:51], v[79:80], s[14:15]
	v_add_f64 v[20:21], v[40:41], v[20:21]
	v_add_f64 v[22:23], v[42:43], v[22:23]
	v_mul_f64 v[40:41], v[81:82], s[0:1]
	v_mul_f64 v[42:43], v[79:80], s[2:3]
	v_add_f64 v[16:17], v[44:45], v[16:17]
	v_add_f64 v[18:19], v[46:47], v[18:19]
	v_fma_f64 v[44:45], v[69:70], s[14:15], v[48:49]
	v_fma_f64 v[46:47], v[67:68], s[16:17], v[50:51]
	v_fma_f64 v[48:49], v[69:70], s[14:15], -v[48:49]
	v_fma_f64 v[50:51], v[67:68], s[8:9], v[50:51]
	v_fma_f64 v[75:76], v[69:70], s[2:3], v[40:41]
	;; [unrolled: 1-line block ×3, first 2 shown]
	v_fma_f64 v[69:70], v[69:70], s[2:3], -v[40:41]
	v_fma_f64 v[67:68], v[67:68], s[0:1], v[42:43]
	v_add_f64 v[12:13], v[44:45], v[12:13]
	v_add_f64 v[14:15], v[46:47], v[14:15]
	s_movk_i32 s0, 0xd0
	v_add_f64 v[40:41], v[48:49], v[52:53]
	v_add_f64 v[44:45], v[75:76], v[71:72]
	;; [unrolled: 1-line block ×6, first 2 shown]
	v_mad_u32_u24 v52, v58, s0, v87
	v_lshl_add_u32 v78, v65, 4, v87
	v_lshl_add_u32 v76, v63, 4, v87
	s_waitcnt lgkmcnt(0)
	; wave barrier
	ds_write_b128 v52, v[0:3]
	ds_write_b128 v52, v[8:11] offset:16
	ds_write_b128 v52, v[36:39] offset:32
	;; [unrolled: 1-line block ×12, first 2 shown]
	s_waitcnt lgkmcnt(0)
	; wave barrier
	s_waitcnt lgkmcnt(0)
	ds_read_b128 v[20:23], v88
	ds_read_b128 v[32:35], v90 offset:208
	v_lshl_add_u32 v79, v66, 4, v87
	ds_read_b128 v[36:39], v90 offset:240
	ds_read_b128 v[40:43], v90 offset:272
	v_lshl_add_u32 v77, v64, 4, v87
	ds_read_b128 v[12:15], v78
	ds_read_b128 v[8:11], v77
	ds_read_b128 v[44:47], v90 offset:304
	ds_read_b128 v[48:51], v90 offset:336
	v_lshl_add_u32 v75, v62, 4, v87
	ds_read_b128 v[24:27], v76
	ds_read_b128 v[16:19], v75
	;; [unrolled: 1-line block ×3, first 2 shown]
	ds_read_b128 v[52:55], v90 offset:368
	v_cmp_ne_u32_e64 s[2:3], 0, v58
	v_mov_b32_e32 v72, 0
	v_cmp_eq_u32_e64 s[0:1], 0, v58
	v_mov_b32_e32 v73, 0
                                        ; implicit-def: $vgpr2_vgpr3
	s_and_saveexec_b64 s[4:5], s[0:1]
	s_cbranch_execz .LBB0_15
; %bb.14:
	ds_read_b128 v[4:7], v87 offset:192
	ds_read_b128 v[0:3], v87 offset:400
	v_mov_b32_e32 v72, 12
	v_mov_b32_e32 v73, 0
.LBB0_15:
	s_or_b64 exec, exec, s[4:5]
	v_mov_b32_e32 v59, 0
	v_lshlrev_b64 v[67:68], 4, v[58:59]
	v_mov_b32_e32 v84, s13
	v_add_co_u32_e64 v73, s[4:5], s12, v67
	v_mov_b32_e32 v67, v59
	v_lshlrev_b64 v[66:67], 4, v[66:67]
	v_addc_co_u32_e64 v74, s[4:5], v84, v68, s[4:5]
	v_add_co_u32_e64 v68, s[4:5], s12, v66
	v_mov_b32_e32 v66, v59
	v_lshlrev_b64 v[65:66], 4, v[65:66]
	v_addc_co_u32_e64 v69, s[4:5], v84, v67, s[4:5]
	;; [unrolled: 4-line block ×3, first 2 shown]
	global_load_dwordx4 v[80:83], v[73:74], off
	global_load_dwordx4 v[91:94], v[68:69], off
	v_add_co_u32_e64 v66, s[4:5], s12, v64
	v_mov_b32_e32 v64, v59
	v_addc_co_u32_e64 v67, s[4:5], v84, v65, s[4:5]
	v_lshlrev_b64 v[64:65], 4, v[63:64]
	v_mov_b32_e32 v63, v59
	global_load_dwordx4 v[95:98], v[70:71], off
	global_load_dwordx4 v[99:102], v[66:67], off
	v_add_co_u32_e64 v64, s[4:5], s12, v64
	v_lshlrev_b64 v[62:63], 4, v[62:63]
	v_addc_co_u32_e64 v65, s[4:5], v84, v65, s[4:5]
	v_add_co_u32_e64 v62, s[4:5], s12, v62
	global_load_dwordx4 v[103:106], v[64:65], off
	v_addc_co_u32_e64 v63, s[4:5], v84, v63, s[4:5]
	global_load_dwordx4 v[107:110], v[62:63], off
	s_waitcnt lgkmcnt(0)
	; wave barrier
	s_waitcnt vmcnt(5) lgkmcnt(0)
	v_mul_f64 v[84:85], v[34:35], v[82:83]
	v_mul_f64 v[82:83], v[32:33], v[82:83]
	s_waitcnt vmcnt(4)
	v_mul_f64 v[111:112], v[38:39], v[93:94]
	v_mul_f64 v[93:94], v[36:37], v[93:94]
	s_waitcnt vmcnt(3)
	v_mul_f64 v[113:114], v[42:43], v[97:98]
	v_mul_f64 v[97:98], v[40:41], v[97:98]
	s_waitcnt vmcnt(2)
	v_mul_f64 v[115:116], v[46:47], v[101:102]
	v_mul_f64 v[101:102], v[44:45], v[101:102]
	v_fma_f64 v[32:33], v[32:33], v[80:81], v[84:85]
	v_fma_f64 v[34:35], v[34:35], v[80:81], -v[82:83]
	v_fma_f64 v[36:37], v[36:37], v[91:92], v[111:112]
	v_fma_f64 v[38:39], v[38:39], v[91:92], -v[93:94]
	v_fma_f64 v[40:41], v[40:41], v[95:96], v[113:114]
	s_waitcnt vmcnt(1)
	v_mul_f64 v[117:118], v[50:51], v[105:106]
	v_mul_f64 v[105:106], v[48:49], v[105:106]
	v_fma_f64 v[42:43], v[42:43], v[95:96], -v[97:98]
	s_waitcnt vmcnt(0)
	v_mul_f64 v[119:120], v[54:55], v[109:110]
	v_mul_f64 v[109:110], v[52:53], v[109:110]
	v_fma_f64 v[44:45], v[44:45], v[99:100], v[115:116]
	v_fma_f64 v[46:47], v[46:47], v[99:100], -v[101:102]
	v_add_f64 v[32:33], v[20:21], -v[32:33]
	v_fma_f64 v[48:49], v[48:49], v[103:104], v[117:118]
	v_fma_f64 v[50:51], v[50:51], v[103:104], -v[105:106]
	v_add_f64 v[34:35], v[22:23], -v[34:35]
	;; [unrolled: 3-line block ×3, first 2 shown]
	v_add_f64 v[38:39], v[30:31], -v[38:39]
	v_add_f64 v[40:41], v[12:13], -v[40:41]
	;; [unrolled: 1-line block ×9, first 2 shown]
	v_fma_f64 v[20:21], v[20:21], 2.0, -v[32:33]
	v_fma_f64 v[22:23], v[22:23], 2.0, -v[34:35]
	;; [unrolled: 1-line block ×10, first 2 shown]
	ds_write_b128 v90, v[32:35] offset:208
	v_fma_f64 v[16:17], v[16:17], 2.0, -v[52:53]
	v_fma_f64 v[18:19], v[18:19], 2.0, -v[54:55]
	ds_write_b128 v90, v[20:23]
	ds_write_b128 v79, v[36:39] offset:208
	ds_write_b128 v79, v[28:31]
	ds_write_b128 v78, v[12:15]
	ds_write_b128 v78, v[40:43] offset:208
	ds_write_b128 v77, v[8:11]
	ds_write_b128 v77, v[44:47] offset:208
	;; [unrolled: 2-line block ×4, first 2 shown]
	s_and_saveexec_b64 s[4:5], s[0:1]
	s_cbranch_execz .LBB0_17
; %bb.16:
	v_lshlrev_b32_e32 v8, 4, v72
	global_load_dwordx4 v[8:11], v8, s[12:13]
	s_waitcnt vmcnt(0)
	v_mul_f64 v[12:13], v[0:1], v[10:11]
	v_mul_f64 v[10:11], v[2:3], v[10:11]
	v_fma_f64 v[2:3], v[2:3], v[8:9], -v[12:13]
	v_fma_f64 v[0:1], v[0:1], v[8:9], v[10:11]
	v_add_f64 v[2:3], v[6:7], -v[2:3]
	v_add_f64 v[0:1], v[4:5], -v[0:1]
	v_fma_f64 v[6:7], v[6:7], 2.0, -v[2:3]
	v_fma_f64 v[4:5], v[4:5], 2.0, -v[0:1]
	ds_write_b128 v87, v[4:7] offset:192
	ds_write_b128 v87, v[0:3] offset:400
.LBB0_17:
	s_or_b64 exec, exec, s[4:5]
	s_waitcnt lgkmcnt(0)
	; wave barrier
	s_waitcnt lgkmcnt(0)
	ds_read_b128 v[8:11], v88
	v_sub_u32_e32 v12, v87, v89
                                        ; implicit-def: $vgpr6_vgpr7
                                        ; implicit-def: $vgpr2_vgpr3
	s_and_saveexec_b64 s[4:5], s[2:3]
	s_xor_b64 s[2:3], exec, s[4:5]
	s_cbranch_execz .LBB0_19
; %bb.18:
	global_load_dwordx4 v[13:16], v[73:74], off offset:208
	ds_read_b128 v[0:3], v12 offset:416
	s_waitcnt lgkmcnt(0)
	v_add_f64 v[4:5], v[8:9], -v[0:1]
	v_add_f64 v[6:7], v[10:11], v[2:3]
	v_add_f64 v[2:3], v[10:11], -v[2:3]
	v_add_f64 v[0:1], v[8:9], v[0:1]
	v_mul_f64 v[10:11], v[4:5], 0.5
	v_mul_f64 v[4:5], v[6:7], 0.5
	;; [unrolled: 1-line block ×3, first 2 shown]
	s_waitcnt vmcnt(0)
	v_mul_f64 v[6:7], v[10:11], v[15:16]
	v_fma_f64 v[8:9], v[4:5], v[15:16], v[2:3]
	v_fma_f64 v[15:16], v[4:5], v[15:16], -v[2:3]
	v_fma_f64 v[17:18], v[0:1], 0.5, v[6:7]
	v_fma_f64 v[6:7], v[0:1], 0.5, -v[6:7]
	v_fma_f64 v[2:3], -v[13:14], v[10:11], v[8:9]
                                        ; implicit-def: $vgpr8_vgpr9
	v_fma_f64 v[0:1], v[4:5], v[13:14], v[17:18]
	v_fma_f64 v[4:5], -v[4:5], v[13:14], v[6:7]
	v_fma_f64 v[6:7], -v[13:14], v[10:11], v[15:16]
.LBB0_19:
	s_andn2_saveexec_b64 s[2:3], s[2:3]
	s_cbranch_execz .LBB0_21
; %bb.20:
	s_waitcnt lgkmcnt(0)
	v_add_f64 v[0:1], v[8:9], v[10:11]
	ds_read_b64 v[6:7], v87 offset:216
	v_add_f64 v[4:5], v[8:9], -v[10:11]
	v_mov_b32_e32 v2, 0
	v_mov_b32_e32 v3, 0
	s_waitcnt lgkmcnt(0)
	v_xor_b32_e32 v7, 0x80000000, v7
	ds_write_b64 v87, v[6:7] offset:216
	v_mov_b32_e32 v7, v3
	v_mov_b32_e32 v6, v2
.LBB0_21:
	s_or_b64 exec, exec, s[2:3]
	s_waitcnt lgkmcnt(0)
	global_load_dwordx4 v[8:11], v[68:69], off offset:208
	global_load_dwordx4 v[13:16], v[70:71], off offset:208
	ds_write_b128 v88, v[0:3]
	ds_write_b128 v12, v[4:7] offset:416
	ds_read_b128 v[0:3], v79
	ds_read_b128 v[4:7], v12 offset:384
	s_waitcnt lgkmcnt(0)
	v_add_f64 v[17:18], v[0:1], -v[4:5]
	v_add_f64 v[19:20], v[2:3], v[6:7]
	v_add_f64 v[2:3], v[2:3], -v[6:7]
	v_add_f64 v[0:1], v[0:1], v[4:5]
	v_mul_f64 v[6:7], v[17:18], 0.5
	v_mul_f64 v[21:22], v[19:20], 0.5
	;; [unrolled: 1-line block ×3, first 2 shown]
	s_waitcnt vmcnt(1)
	v_mul_f64 v[4:5], v[6:7], v[10:11]
	v_fma_f64 v[17:18], v[21:22], v[10:11], v[2:3]
	v_fma_f64 v[10:11], v[21:22], v[10:11], -v[2:3]
	v_fma_f64 v[19:20], v[0:1], 0.5, v[4:5]
	v_fma_f64 v[4:5], v[0:1], 0.5, -v[4:5]
	v_fma_f64 v[2:3], -v[8:9], v[6:7], v[17:18]
	v_fma_f64 v[6:7], -v[8:9], v[6:7], v[10:11]
	v_fma_f64 v[0:1], v[21:22], v[8:9], v[19:20]
	global_load_dwordx4 v[17:20], v[66:67], off offset:208
	v_fma_f64 v[4:5], -v[21:22], v[8:9], v[4:5]
	ds_write_b128 v79, v[0:3]
	ds_write_b128 v12, v[4:7] offset:384
	ds_read_b128 v[0:3], v78
	ds_read_b128 v[4:7], v12 offset:352
	s_waitcnt lgkmcnt(0)
	v_add_f64 v[8:9], v[0:1], -v[4:5]
	v_add_f64 v[10:11], v[2:3], v[6:7]
	v_add_f64 v[2:3], v[2:3], -v[6:7]
	v_add_f64 v[0:1], v[0:1], v[4:5]
	v_mul_f64 v[8:9], v[8:9], 0.5
	v_mul_f64 v[21:22], v[10:11], 0.5
	;; [unrolled: 1-line block ×3, first 2 shown]
	s_waitcnt vmcnt(1)
	v_mul_f64 v[4:5], v[8:9], v[15:16]
	v_fma_f64 v[6:7], v[21:22], v[15:16], v[2:3]
	v_fma_f64 v[10:11], v[21:22], v[15:16], -v[2:3]
	v_fma_f64 v[15:16], v[0:1], 0.5, v[4:5]
	v_fma_f64 v[23:24], v[0:1], 0.5, -v[4:5]
	global_load_dwordx4 v[0:3], v[64:65], off offset:208
	v_fma_f64 v[6:7], -v[13:14], v[8:9], v[6:7]
	v_fma_f64 v[10:11], -v[13:14], v[8:9], v[10:11]
	v_fma_f64 v[4:5], v[21:22], v[13:14], v[15:16]
	v_fma_f64 v[8:9], -v[21:22], v[13:14], v[23:24]
	ds_write_b128 v78, v[4:7]
	ds_write_b128 v12, v[8:11] offset:352
	ds_read_b128 v[4:7], v77
	ds_read_b128 v[8:11], v12 offset:320
	s_waitcnt lgkmcnt(0)
	v_add_f64 v[13:14], v[4:5], -v[8:9]
	v_add_f64 v[15:16], v[6:7], v[10:11]
	v_add_f64 v[6:7], v[6:7], -v[10:11]
	v_add_f64 v[4:5], v[4:5], v[8:9]
	v_mul_f64 v[13:14], v[13:14], 0.5
	v_mul_f64 v[21:22], v[15:16], 0.5
	;; [unrolled: 1-line block ×3, first 2 shown]
	s_waitcnt vmcnt(1)
	v_mul_f64 v[8:9], v[13:14], v[19:20]
	v_fma_f64 v[10:11], v[21:22], v[19:20], v[6:7]
	v_fma_f64 v[15:16], v[21:22], v[19:20], -v[6:7]
	v_fma_f64 v[19:20], v[4:5], 0.5, v[8:9]
	v_fma_f64 v[23:24], v[4:5], 0.5, -v[8:9]
	global_load_dwordx4 v[4:7], v[62:63], off offset:208
	v_fma_f64 v[10:11], -v[17:18], v[13:14], v[10:11]
	v_fma_f64 v[15:16], -v[17:18], v[13:14], v[15:16]
	v_fma_f64 v[8:9], v[21:22], v[17:18], v[19:20]
	v_fma_f64 v[13:14], -v[21:22], v[17:18], v[23:24]
	ds_write_b128 v77, v[8:11]
	ds_write_b128 v12, v[13:16] offset:320
	ds_read_b128 v[8:11], v76
	ds_read_b128 v[13:16], v12 offset:288
	s_waitcnt lgkmcnt(0)
	v_add_f64 v[17:18], v[8:9], -v[13:14]
	v_add_f64 v[19:20], v[10:11], v[15:16]
	v_add_f64 v[10:11], v[10:11], -v[15:16]
	v_add_f64 v[8:9], v[8:9], v[13:14]
	v_mul_f64 v[15:16], v[17:18], 0.5
	v_mul_f64 v[17:18], v[19:20], 0.5
	;; [unrolled: 1-line block ×3, first 2 shown]
	s_waitcnt vmcnt(1)
	v_mul_f64 v[13:14], v[15:16], v[2:3]
	v_fma_f64 v[19:20], v[17:18], v[2:3], v[10:11]
	v_fma_f64 v[2:3], v[17:18], v[2:3], -v[10:11]
	v_fma_f64 v[21:22], v[8:9], 0.5, v[13:14]
	v_fma_f64 v[13:14], v[8:9], 0.5, -v[13:14]
	v_fma_f64 v[10:11], -v[0:1], v[15:16], v[19:20]
	v_fma_f64 v[2:3], -v[0:1], v[15:16], v[2:3]
	v_fma_f64 v[8:9], v[17:18], v[0:1], v[21:22]
	v_fma_f64 v[0:1], -v[17:18], v[0:1], v[13:14]
	ds_write_b128 v76, v[8:11]
	ds_write_b128 v12, v[0:3] offset:288
	ds_read_b128 v[0:3], v75
	ds_read_b128 v[8:11], v12 offset:256
	s_waitcnt lgkmcnt(0)
	v_add_f64 v[13:14], v[0:1], -v[8:9]
	v_add_f64 v[15:16], v[2:3], v[10:11]
	v_add_f64 v[2:3], v[2:3], -v[10:11]
	v_add_f64 v[0:1], v[0:1], v[8:9]
	v_mul_f64 v[10:11], v[13:14], 0.5
	v_mul_f64 v[13:14], v[15:16], 0.5
	;; [unrolled: 1-line block ×3, first 2 shown]
	s_waitcnt vmcnt(0)
	v_mul_f64 v[8:9], v[10:11], v[6:7]
	v_fma_f64 v[15:16], v[13:14], v[6:7], v[2:3]
	v_fma_f64 v[6:7], v[13:14], v[6:7], -v[2:3]
	v_fma_f64 v[17:18], v[0:1], 0.5, v[8:9]
	v_fma_f64 v[8:9], v[0:1], 0.5, -v[8:9]
	v_fma_f64 v[2:3], -v[4:5], v[10:11], v[15:16]
	v_fma_f64 v[6:7], -v[4:5], v[10:11], v[6:7]
	v_fma_f64 v[0:1], v[13:14], v[4:5], v[17:18]
	v_fma_f64 v[4:5], -v[13:14], v[4:5], v[8:9]
	ds_write_b128 v75, v[0:3]
	ds_write_b128 v12, v[4:7] offset:256
	s_and_saveexec_b64 s[2:3], s[0:1]
	s_cbranch_execz .LBB0_23
; %bb.22:
	ds_read_b128 v[0:3], v87 offset:192
	ds_read_b128 v[4:7], v87 offset:224
	s_load_dwordx4 s[12:15], s[12:13], 0x190
	s_waitcnt lgkmcnt(0)
	v_add_f64 v[8:9], v[0:1], -v[4:5]
	v_add_f64 v[10:11], v[2:3], v[6:7]
	v_add_f64 v[2:3], v[2:3], -v[6:7]
	v_add_f64 v[0:1], v[0:1], v[4:5]
	v_mul_f64 v[6:7], v[8:9], 0.5
	v_mul_f64 v[8:9], v[10:11], 0.5
	;; [unrolled: 1-line block ×3, first 2 shown]
	v_mul_f64 v[4:5], v[6:7], s[14:15]
	v_fma_f64 v[10:11], v[8:9], s[14:15], v[2:3]
	v_fma_f64 v[12:13], v[8:9], s[14:15], -v[2:3]
	v_fma_f64 v[14:15], v[0:1], 0.5, v[4:5]
	v_fma_f64 v[4:5], v[0:1], 0.5, -v[4:5]
	v_fma_f64 v[2:3], -s[12:13], v[6:7], v[10:11]
	v_fma_f64 v[6:7], -s[12:13], v[6:7], v[12:13]
	v_fma_f64 v[0:1], v[8:9], s[12:13], v[14:15]
	v_fma_f64 v[4:5], -v[8:9], s[12:13], v[4:5]
	ds_write_b128 v87, v[0:3] offset:192
	ds_write_b128 v87, v[4:7] offset:224
.LBB0_23:
	s_or_b64 exec, exec, s[2:3]
	s_waitcnt lgkmcnt(0)
	; wave barrier
	s_waitcnt lgkmcnt(0)
	s_and_saveexec_b64 s[0:1], vcc
	s_cbranch_execz .LBB0_26
; %bb.24:
	v_mul_lo_u32 v2, s7, v60
	v_mul_lo_u32 v3, s6, v61
	v_mad_u64_u32 v[0:1], s[0:1], s6, v60, 0
	v_mov_b32_e32 v59, 0
	v_lshlrev_b64 v[7:8], 4, v[58:59]
	v_add3_u32 v1, v1, v3, v2
	v_lshlrev_b64 v[0:1], 4, v[0:1]
	v_mov_b32_e32 v3, s11
	v_add_co_u32_e32 v4, vcc, s10, v0
	v_addc_co_u32_e32 v3, vcc, v3, v1, vcc
	v_lshlrev_b64 v[0:1], 4, v[56:57]
	v_lshl_add_u32 v2, v58, 4, v87
	v_add_co_u32_e32 v0, vcc, v4, v0
	v_addc_co_u32_e32 v1, vcc, v3, v1, vcc
	ds_read_b128 v[3:6], v2
	v_add_co_u32_e32 v11, vcc, v0, v7
	v_addc_co_u32_e32 v12, vcc, v1, v8, vcc
	ds_read_b128 v[7:10], v2 offset:32
	s_waitcnt lgkmcnt(1)
	global_store_dwordx4 v[11:12], v[3:6], off
	s_nop 0
	v_add_u32_e32 v3, 2, v58
	v_mov_b32_e32 v4, v59
	v_lshlrev_b64 v[3:4], 4, v[3:4]
	v_add_co_u32_e32 v3, vcc, v0, v3
	v_addc_co_u32_e32 v4, vcc, v1, v4, vcc
	s_waitcnt lgkmcnt(0)
	global_store_dwordx4 v[3:4], v[7:10], off
	ds_read_b128 v[3:6], v2 offset:64
	v_add_u32_e32 v7, 4, v58
	v_mov_b32_e32 v8, v59
	v_lshlrev_b64 v[7:8], 4, v[7:8]
	v_add_co_u32_e32 v11, vcc, v0, v7
	v_addc_co_u32_e32 v12, vcc, v1, v8, vcc
	ds_read_b128 v[7:10], v2 offset:96
	s_waitcnt lgkmcnt(1)
	global_store_dwordx4 v[11:12], v[3:6], off
	s_nop 0
	v_add_u32_e32 v3, 6, v58
	v_mov_b32_e32 v4, v59
	v_lshlrev_b64 v[3:4], 4, v[3:4]
	v_add_co_u32_e32 v3, vcc, v0, v3
	v_addc_co_u32_e32 v4, vcc, v1, v4, vcc
	s_waitcnt lgkmcnt(0)
	global_store_dwordx4 v[3:4], v[7:10], off
	ds_read_b128 v[3:6], v2 offset:128
	v_add_u32_e32 v7, 8, v58
	v_mov_b32_e32 v8, v59
	v_lshlrev_b64 v[7:8], 4, v[7:8]
	;; [unrolled: 17-line block ×4, first 2 shown]
	v_add_co_u32_e32 v11, vcc, v0, v7
	v_addc_co_u32_e32 v12, vcc, v1, v8, vcc
	ds_read_b128 v[7:10], v2 offset:288
	s_waitcnt lgkmcnt(1)
	global_store_dwordx4 v[11:12], v[3:6], off
	s_nop 0
	v_add_u32_e32 v3, 18, v58
	v_mov_b32_e32 v4, v59
	v_lshlrev_b64 v[3:4], 4, v[3:4]
	v_add_co_u32_e32 v11, vcc, v0, v3
	v_addc_co_u32_e32 v12, vcc, v1, v4, vcc
	ds_read_b128 v[3:6], v2 offset:320
	s_waitcnt lgkmcnt(1)
	global_store_dwordx4 v[11:12], v[7:10], off
	s_nop 0
	v_add_u32_e32 v7, 20, v58
	v_mov_b32_e32 v8, v59
	v_lshlrev_b64 v[7:8], 4, v[7:8]
	;; [unrolled: 9-line block ×3, first 2 shown]
	v_add_co_u32_e32 v3, vcc, v0, v3
	v_addc_co_u32_e32 v4, vcc, v1, v4, vcc
	s_waitcnt lgkmcnt(0)
	global_store_dwordx4 v[3:4], v[7:10], off
	ds_read_b128 v[3:6], v2 offset:384
	v_add_u32_e32 v7, 24, v58
	v_mov_b32_e32 v8, v59
	v_lshlrev_b64 v[7:8], 4, v[7:8]
	v_add_co_u32_e32 v7, vcc, v0, v7
	v_addc_co_u32_e32 v8, vcc, v1, v8, vcc
	v_cmp_eq_u32_e32 vcc, 1, v58
	s_waitcnt lgkmcnt(0)
	global_store_dwordx4 v[7:8], v[3:6], off
	s_and_b64 exec, exec, vcc
	s_cbranch_execz .LBB0_26
; %bb.25:
	ds_read_b128 v[2:5], v2 offset:400
	s_waitcnt lgkmcnt(0)
	global_store_dwordx4 v[0:1], v[2:5], off offset:416
.LBB0_26:
	s_endpgm
	.section	.rodata,"a",@progbits
	.p2align	6, 0x0
	.amdhsa_kernel fft_rtc_back_len26_factors_13_2_wgs_64_tpt_2_halfLds_dp_op_CI_CI_unitstride_sbrr_R2C_dirReg
		.amdhsa_group_segment_fixed_size 0
		.amdhsa_private_segment_fixed_size 0
		.amdhsa_kernarg_size 104
		.amdhsa_user_sgpr_count 6
		.amdhsa_user_sgpr_private_segment_buffer 1
		.amdhsa_user_sgpr_dispatch_ptr 0
		.amdhsa_user_sgpr_queue_ptr 0
		.amdhsa_user_sgpr_kernarg_segment_ptr 1
		.amdhsa_user_sgpr_dispatch_id 0
		.amdhsa_user_sgpr_flat_scratch_init 0
		.amdhsa_user_sgpr_private_segment_size 0
		.amdhsa_uses_dynamic_stack 0
		.amdhsa_system_sgpr_private_segment_wavefront_offset 0
		.amdhsa_system_sgpr_workgroup_id_x 1
		.amdhsa_system_sgpr_workgroup_id_y 0
		.amdhsa_system_sgpr_workgroup_id_z 0
		.amdhsa_system_sgpr_workgroup_info 0
		.amdhsa_system_vgpr_workitem_id 0
		.amdhsa_next_free_vgpr 123
		.amdhsa_next_free_sgpr 44
		.amdhsa_reserve_vcc 1
		.amdhsa_reserve_flat_scratch 0
		.amdhsa_float_round_mode_32 0
		.amdhsa_float_round_mode_16_64 0
		.amdhsa_float_denorm_mode_32 3
		.amdhsa_float_denorm_mode_16_64 3
		.amdhsa_dx10_clamp 1
		.amdhsa_ieee_mode 1
		.amdhsa_fp16_overflow 0
		.amdhsa_exception_fp_ieee_invalid_op 0
		.amdhsa_exception_fp_denorm_src 0
		.amdhsa_exception_fp_ieee_div_zero 0
		.amdhsa_exception_fp_ieee_overflow 0
		.amdhsa_exception_fp_ieee_underflow 0
		.amdhsa_exception_fp_ieee_inexact 0
		.amdhsa_exception_int_div_zero 0
	.end_amdhsa_kernel
	.text
.Lfunc_end0:
	.size	fft_rtc_back_len26_factors_13_2_wgs_64_tpt_2_halfLds_dp_op_CI_CI_unitstride_sbrr_R2C_dirReg, .Lfunc_end0-fft_rtc_back_len26_factors_13_2_wgs_64_tpt_2_halfLds_dp_op_CI_CI_unitstride_sbrr_R2C_dirReg
                                        ; -- End function
	.section	.AMDGPU.csdata,"",@progbits
; Kernel info:
; codeLenInByte = 8524
; NumSgprs: 48
; NumVgprs: 123
; ScratchSize: 0
; MemoryBound: 0
; FloatMode: 240
; IeeeMode: 1
; LDSByteSize: 0 bytes/workgroup (compile time only)
; SGPRBlocks: 5
; VGPRBlocks: 30
; NumSGPRsForWavesPerEU: 48
; NumVGPRsForWavesPerEU: 123
; Occupancy: 2
; WaveLimiterHint : 1
; COMPUTE_PGM_RSRC2:SCRATCH_EN: 0
; COMPUTE_PGM_RSRC2:USER_SGPR: 6
; COMPUTE_PGM_RSRC2:TRAP_HANDLER: 0
; COMPUTE_PGM_RSRC2:TGID_X_EN: 1
; COMPUTE_PGM_RSRC2:TGID_Y_EN: 0
; COMPUTE_PGM_RSRC2:TGID_Z_EN: 0
; COMPUTE_PGM_RSRC2:TIDIG_COMP_CNT: 0
	.type	__hip_cuid_312a81ee9ddeb9e2,@object ; @__hip_cuid_312a81ee9ddeb9e2
	.section	.bss,"aw",@nobits
	.globl	__hip_cuid_312a81ee9ddeb9e2
__hip_cuid_312a81ee9ddeb9e2:
	.byte	0                               ; 0x0
	.size	__hip_cuid_312a81ee9ddeb9e2, 1

	.ident	"AMD clang version 19.0.0git (https://github.com/RadeonOpenCompute/llvm-project roc-6.4.0 25133 c7fe45cf4b819c5991fe208aaa96edf142730f1d)"
	.section	".note.GNU-stack","",@progbits
	.addrsig
	.addrsig_sym __hip_cuid_312a81ee9ddeb9e2
	.amdgpu_metadata
---
amdhsa.kernels:
  - .args:
      - .actual_access:  read_only
        .address_space:  global
        .offset:         0
        .size:           8
        .value_kind:     global_buffer
      - .offset:         8
        .size:           8
        .value_kind:     by_value
      - .actual_access:  read_only
        .address_space:  global
        .offset:         16
        .size:           8
        .value_kind:     global_buffer
      - .actual_access:  read_only
        .address_space:  global
        .offset:         24
        .size:           8
        .value_kind:     global_buffer
      - .actual_access:  read_only
        .address_space:  global
        .offset:         32
        .size:           8
        .value_kind:     global_buffer
      - .offset:         40
        .size:           8
        .value_kind:     by_value
      - .actual_access:  read_only
        .address_space:  global
        .offset:         48
        .size:           8
        .value_kind:     global_buffer
      - .actual_access:  read_only
        .address_space:  global
        .offset:         56
        .size:           8
        .value_kind:     global_buffer
      - .offset:         64
        .size:           4
        .value_kind:     by_value
      - .actual_access:  read_only
        .address_space:  global
        .offset:         72
        .size:           8
        .value_kind:     global_buffer
      - .actual_access:  read_only
        .address_space:  global
        .offset:         80
        .size:           8
        .value_kind:     global_buffer
      - .actual_access:  read_only
        .address_space:  global
        .offset:         88
        .size:           8
        .value_kind:     global_buffer
      - .actual_access:  write_only
        .address_space:  global
        .offset:         96
        .size:           8
        .value_kind:     global_buffer
    .group_segment_fixed_size: 0
    .kernarg_segment_align: 8
    .kernarg_segment_size: 104
    .language:       OpenCL C
    .language_version:
      - 2
      - 0
    .max_flat_workgroup_size: 64
    .name:           fft_rtc_back_len26_factors_13_2_wgs_64_tpt_2_halfLds_dp_op_CI_CI_unitstride_sbrr_R2C_dirReg
    .private_segment_fixed_size: 0
    .sgpr_count:     48
    .sgpr_spill_count: 0
    .symbol:         fft_rtc_back_len26_factors_13_2_wgs_64_tpt_2_halfLds_dp_op_CI_CI_unitstride_sbrr_R2C_dirReg.kd
    .uniform_work_group_size: 1
    .uses_dynamic_stack: false
    .vgpr_count:     123
    .vgpr_spill_count: 0
    .wavefront_size: 64
amdhsa.target:   amdgcn-amd-amdhsa--gfx906
amdhsa.version:
  - 1
  - 2
...

	.end_amdgpu_metadata
